;; amdgpu-corpus repo=ROCm/rocFFT kind=compiled arch=gfx1201 opt=O3
	.text
	.amdgcn_target "amdgcn-amd-amdhsa--gfx1201"
	.amdhsa_code_object_version 6
	.protected	fft_rtc_back_len858_factors_13_11_6_wgs_234_tpt_78_halfLds_dp_op_CI_CI_unitstride_sbrr_dirReg ; -- Begin function fft_rtc_back_len858_factors_13_11_6_wgs_234_tpt_78_halfLds_dp_op_CI_CI_unitstride_sbrr_dirReg
	.globl	fft_rtc_back_len858_factors_13_11_6_wgs_234_tpt_78_halfLds_dp_op_CI_CI_unitstride_sbrr_dirReg
	.p2align	8
	.type	fft_rtc_back_len858_factors_13_11_6_wgs_234_tpt_78_halfLds_dp_op_CI_CI_unitstride_sbrr_dirReg,@function
fft_rtc_back_len858_factors_13_11_6_wgs_234_tpt_78_halfLds_dp_op_CI_CI_unitstride_sbrr_dirReg: ; @fft_rtc_back_len858_factors_13_11_6_wgs_234_tpt_78_halfLds_dp_op_CI_CI_unitstride_sbrr_dirReg
; %bb.0:
	s_load_b128 s[4:7], s[0:1], 0x0
	v_mul_u32_u24_e32 v1, 0x349, v0
	s_clause 0x1
	s_load_b128 s[8:11], s[0:1], 0x58
	s_load_b128 s[12:15], s[0:1], 0x18
	v_mov_b32_e32 v5, 0
	v_mov_b32_e32 v3, 0
	;; [unrolled: 1-line block ×3, first 2 shown]
	v_lshrrev_b32_e32 v1, 16, v1
	s_delay_alu instid0(VALU_DEP_2) | instskip(NEXT) | instid1(VALU_DEP_2)
	v_dual_mov_b32 v79, v4 :: v_dual_mov_b32 v78, v3
	v_mad_co_u64_u32 v[1:2], null, ttmp9, 3, v[1:2]
	v_mov_b32_e32 v2, v5
	s_delay_alu instid0(VALU_DEP_1) | instskip(SKIP_2) | instid1(VALU_DEP_1)
	v_dual_mov_b32 v81, v2 :: v_dual_mov_b32 v80, v1
	s_wait_kmcnt 0x0
	v_cmp_lt_u64_e64 s2, s[6:7], 2
	s_and_b32 vcc_lo, exec_lo, s2
	s_cbranch_vccnz .LBB0_8
; %bb.1:
	s_load_b64 s[2:3], s[0:1], 0x10
	v_dual_mov_b32 v3, 0 :: v_dual_mov_b32 v8, v2
	v_dual_mov_b32 v4, 0 :: v_dual_mov_b32 v7, v1
	s_add_nc_u64 s[16:17], s[14:15], 8
	s_add_nc_u64 s[18:19], s[12:13], 8
	s_mov_b64 s[20:21], 1
	s_delay_alu instid0(VALU_DEP_1)
	v_dual_mov_b32 v79, v4 :: v_dual_mov_b32 v78, v3
	s_wait_kmcnt 0x0
	s_add_nc_u64 s[22:23], s[2:3], 8
	s_mov_b32 s3, 0
.LBB0_2:                                ; =>This Inner Loop Header: Depth=1
	s_load_b64 s[24:25], s[22:23], 0x0
                                        ; implicit-def: $vgpr80_vgpr81
	s_mov_b32 s2, exec_lo
	s_wait_kmcnt 0x0
	v_or_b32_e32 v6, s25, v8
	s_delay_alu instid0(VALU_DEP_1)
	v_cmpx_ne_u64_e32 0, v[5:6]
	s_wait_alu 0xfffe
	s_xor_b32 s26, exec_lo, s2
	s_cbranch_execz .LBB0_4
; %bb.3:                                ;   in Loop: Header=BB0_2 Depth=1
	s_cvt_f32_u32 s2, s24
	s_cvt_f32_u32 s27, s25
	s_sub_nc_u64 s[30:31], 0, s[24:25]
	s_wait_alu 0xfffe
	s_delay_alu instid0(SALU_CYCLE_1) | instskip(SKIP_1) | instid1(SALU_CYCLE_2)
	s_fmamk_f32 s2, s27, 0x4f800000, s2
	s_wait_alu 0xfffe
	v_s_rcp_f32 s2, s2
	s_delay_alu instid0(TRANS32_DEP_1) | instskip(SKIP_1) | instid1(SALU_CYCLE_2)
	s_mul_f32 s2, s2, 0x5f7ffffc
	s_wait_alu 0xfffe
	s_mul_f32 s27, s2, 0x2f800000
	s_wait_alu 0xfffe
	s_delay_alu instid0(SALU_CYCLE_2) | instskip(SKIP_1) | instid1(SALU_CYCLE_2)
	s_trunc_f32 s27, s27
	s_wait_alu 0xfffe
	s_fmamk_f32 s2, s27, 0xcf800000, s2
	s_cvt_u32_f32 s29, s27
	s_wait_alu 0xfffe
	s_delay_alu instid0(SALU_CYCLE_1) | instskip(SKIP_1) | instid1(SALU_CYCLE_2)
	s_cvt_u32_f32 s28, s2
	s_wait_alu 0xfffe
	s_mul_u64 s[34:35], s[30:31], s[28:29]
	s_wait_alu 0xfffe
	s_mul_hi_u32 s37, s28, s35
	s_mul_i32 s36, s28, s35
	s_mul_hi_u32 s2, s28, s34
	s_mul_i32 s33, s29, s34
	s_wait_alu 0xfffe
	s_add_nc_u64 s[36:37], s[2:3], s[36:37]
	s_mul_hi_u32 s27, s29, s34
	s_mul_hi_u32 s38, s29, s35
	s_add_co_u32 s2, s36, s33
	s_wait_alu 0xfffe
	s_add_co_ci_u32 s2, s37, s27
	s_mul_i32 s34, s29, s35
	s_add_co_ci_u32 s35, s38, 0
	s_wait_alu 0xfffe
	s_add_nc_u64 s[34:35], s[2:3], s[34:35]
	s_wait_alu 0xfffe
	v_add_co_u32 v2, s2, s28, s34
	s_delay_alu instid0(VALU_DEP_1) | instskip(SKIP_1) | instid1(VALU_DEP_1)
	s_cmp_lg_u32 s2, 0
	s_add_co_ci_u32 s29, s29, s35
	v_readfirstlane_b32 s28, v2
	s_wait_alu 0xfffe
	s_delay_alu instid0(VALU_DEP_1)
	s_mul_u64 s[30:31], s[30:31], s[28:29]
	s_wait_alu 0xfffe
	s_mul_hi_u32 s35, s28, s31
	s_mul_i32 s34, s28, s31
	s_mul_hi_u32 s2, s28, s30
	s_mul_i32 s33, s29, s30
	s_wait_alu 0xfffe
	s_add_nc_u64 s[34:35], s[2:3], s[34:35]
	s_mul_hi_u32 s27, s29, s30
	s_mul_hi_u32 s28, s29, s31
	s_wait_alu 0xfffe
	s_add_co_u32 s2, s34, s33
	s_add_co_ci_u32 s2, s35, s27
	s_mul_i32 s30, s29, s31
	s_add_co_ci_u32 s31, s28, 0
	s_wait_alu 0xfffe
	s_add_nc_u64 s[30:31], s[2:3], s[30:31]
	s_wait_alu 0xfffe
	v_add_co_u32 v2, s2, v2, s30
	s_delay_alu instid0(VALU_DEP_1) | instskip(SKIP_1) | instid1(VALU_DEP_1)
	s_cmp_lg_u32 s2, 0
	s_add_co_ci_u32 s2, s29, s31
	v_mul_hi_u32 v6, v7, v2
	s_wait_alu 0xfffe
	v_mad_co_u64_u32 v[9:10], null, v7, s2, 0
	v_mad_co_u64_u32 v[11:12], null, v8, v2, 0
	;; [unrolled: 1-line block ×3, first 2 shown]
	s_delay_alu instid0(VALU_DEP_3) | instskip(SKIP_1) | instid1(VALU_DEP_4)
	v_add_co_u32 v2, vcc_lo, v6, v9
	s_wait_alu 0xfffd
	v_add_co_ci_u32_e32 v6, vcc_lo, 0, v10, vcc_lo
	s_delay_alu instid0(VALU_DEP_2) | instskip(SKIP_1) | instid1(VALU_DEP_2)
	v_add_co_u32 v2, vcc_lo, v2, v11
	s_wait_alu 0xfffd
	v_add_co_ci_u32_e32 v2, vcc_lo, v6, v12, vcc_lo
	s_wait_alu 0xfffd
	v_add_co_ci_u32_e32 v6, vcc_lo, 0, v14, vcc_lo
	s_delay_alu instid0(VALU_DEP_2) | instskip(SKIP_1) | instid1(VALU_DEP_2)
	v_add_co_u32 v2, vcc_lo, v2, v13
	s_wait_alu 0xfffd
	v_add_co_ci_u32_e32 v6, vcc_lo, 0, v6, vcc_lo
	s_delay_alu instid0(VALU_DEP_2) | instskip(SKIP_1) | instid1(VALU_DEP_3)
	v_mul_lo_u32 v11, s25, v2
	v_mad_co_u64_u32 v[9:10], null, s24, v2, 0
	v_mul_lo_u32 v12, s24, v6
	s_delay_alu instid0(VALU_DEP_2) | instskip(NEXT) | instid1(VALU_DEP_2)
	v_sub_co_u32 v9, vcc_lo, v7, v9
	v_add3_u32 v10, v10, v12, v11
	s_delay_alu instid0(VALU_DEP_1) | instskip(SKIP_1) | instid1(VALU_DEP_1)
	v_sub_nc_u32_e32 v11, v8, v10
	s_wait_alu 0xfffd
	v_subrev_co_ci_u32_e64 v11, s2, s25, v11, vcc_lo
	v_add_co_u32 v12, s2, v2, 2
	s_wait_alu 0xf1ff
	v_add_co_ci_u32_e64 v13, s2, 0, v6, s2
	v_sub_co_u32 v14, s2, v9, s24
	v_sub_co_ci_u32_e32 v10, vcc_lo, v8, v10, vcc_lo
	s_wait_alu 0xf1ff
	v_subrev_co_ci_u32_e64 v11, s2, 0, v11, s2
	s_delay_alu instid0(VALU_DEP_3) | instskip(NEXT) | instid1(VALU_DEP_3)
	v_cmp_le_u32_e32 vcc_lo, s24, v14
	v_cmp_eq_u32_e64 s2, s25, v10
	s_wait_alu 0xfffd
	v_cndmask_b32_e64 v14, 0, -1, vcc_lo
	v_cmp_le_u32_e32 vcc_lo, s25, v11
	s_wait_alu 0xfffd
	v_cndmask_b32_e64 v15, 0, -1, vcc_lo
	v_cmp_le_u32_e32 vcc_lo, s24, v9
	;; [unrolled: 3-line block ×3, first 2 shown]
	s_wait_alu 0xfffd
	v_cndmask_b32_e64 v16, 0, -1, vcc_lo
	v_cmp_eq_u32_e32 vcc_lo, s25, v11
	s_wait_alu 0xf1ff
	s_delay_alu instid0(VALU_DEP_2)
	v_cndmask_b32_e64 v9, v16, v9, s2
	s_wait_alu 0xfffd
	v_cndmask_b32_e32 v11, v15, v14, vcc_lo
	v_add_co_u32 v14, vcc_lo, v2, 1
	s_wait_alu 0xfffd
	v_add_co_ci_u32_e32 v15, vcc_lo, 0, v6, vcc_lo
	s_delay_alu instid0(VALU_DEP_3) | instskip(SKIP_1) | instid1(VALU_DEP_2)
	v_cmp_ne_u32_e32 vcc_lo, 0, v11
	s_wait_alu 0xfffd
	v_dual_cndmask_b32 v10, v15, v13 :: v_dual_cndmask_b32 v11, v14, v12
	v_cmp_ne_u32_e32 vcc_lo, 0, v9
	s_wait_alu 0xfffd
	s_delay_alu instid0(VALU_DEP_2) | instskip(NEXT) | instid1(VALU_DEP_3)
	v_cndmask_b32_e32 v81, v6, v10, vcc_lo
	v_cndmask_b32_e32 v80, v2, v11, vcc_lo
.LBB0_4:                                ;   in Loop: Header=BB0_2 Depth=1
	s_wait_alu 0xfffe
	s_and_not1_saveexec_b32 s2, s26
	s_cbranch_execz .LBB0_6
; %bb.5:                                ;   in Loop: Header=BB0_2 Depth=1
	v_cvt_f32_u32_e32 v2, s24
	s_sub_co_i32 s26, 0, s24
	v_mov_b32_e32 v81, v5
	s_delay_alu instid0(VALU_DEP_2) | instskip(NEXT) | instid1(TRANS32_DEP_1)
	v_rcp_iflag_f32_e32 v2, v2
	v_mul_f32_e32 v2, 0x4f7ffffe, v2
	s_delay_alu instid0(VALU_DEP_1) | instskip(SKIP_1) | instid1(VALU_DEP_1)
	v_cvt_u32_f32_e32 v2, v2
	s_wait_alu 0xfffe
	v_mul_lo_u32 v6, s26, v2
	s_delay_alu instid0(VALU_DEP_1) | instskip(NEXT) | instid1(VALU_DEP_1)
	v_mul_hi_u32 v6, v2, v6
	v_add_nc_u32_e32 v2, v2, v6
	s_delay_alu instid0(VALU_DEP_1) | instskip(NEXT) | instid1(VALU_DEP_1)
	v_mul_hi_u32 v2, v7, v2
	v_mul_lo_u32 v6, v2, s24
	v_add_nc_u32_e32 v9, 1, v2
	s_delay_alu instid0(VALU_DEP_2) | instskip(NEXT) | instid1(VALU_DEP_1)
	v_sub_nc_u32_e32 v6, v7, v6
	v_subrev_nc_u32_e32 v10, s24, v6
	v_cmp_le_u32_e32 vcc_lo, s24, v6
	s_wait_alu 0xfffd
	s_delay_alu instid0(VALU_DEP_2) | instskip(SKIP_1) | instid1(VALU_DEP_2)
	v_cndmask_b32_e32 v6, v6, v10, vcc_lo
	v_cndmask_b32_e32 v2, v2, v9, vcc_lo
	v_cmp_le_u32_e32 vcc_lo, s24, v6
	s_delay_alu instid0(VALU_DEP_2) | instskip(SKIP_1) | instid1(VALU_DEP_1)
	v_add_nc_u32_e32 v9, 1, v2
	s_wait_alu 0xfffd
	v_cndmask_b32_e32 v80, v2, v9, vcc_lo
.LBB0_6:                                ;   in Loop: Header=BB0_2 Depth=1
	s_wait_alu 0xfffe
	s_or_b32 exec_lo, exec_lo, s2
	v_mul_lo_u32 v2, v81, s24
	s_delay_alu instid0(VALU_DEP_2)
	v_mul_lo_u32 v6, v80, s25
	s_load_b64 s[26:27], s[18:19], 0x0
	v_mad_co_u64_u32 v[9:10], null, v80, s24, 0
	s_load_b64 s[24:25], s[16:17], 0x0
	s_add_nc_u64 s[20:21], s[20:21], 1
	s_add_nc_u64 s[16:17], s[16:17], 8
	s_wait_alu 0xfffe
	v_cmp_ge_u64_e64 s2, s[20:21], s[6:7]
	s_add_nc_u64 s[18:19], s[18:19], 8
	s_add_nc_u64 s[22:23], s[22:23], 8
	v_add3_u32 v2, v10, v6, v2
	v_sub_co_u32 v6, vcc_lo, v7, v9
	s_wait_alu 0xfffd
	s_delay_alu instid0(VALU_DEP_2) | instskip(SKIP_2) | instid1(VALU_DEP_1)
	v_sub_co_ci_u32_e32 v2, vcc_lo, v8, v2, vcc_lo
	s_and_b32 vcc_lo, exec_lo, s2
	s_wait_kmcnt 0x0
	v_mul_lo_u32 v7, s26, v2
	v_mul_lo_u32 v8, s27, v6
	v_mad_co_u64_u32 v[3:4], null, s26, v6, v[3:4]
	v_mul_lo_u32 v2, s24, v2
	v_mul_lo_u32 v9, s25, v6
	v_mad_co_u64_u32 v[78:79], null, s24, v6, v[78:79]
	s_delay_alu instid0(VALU_DEP_4) | instskip(NEXT) | instid1(VALU_DEP_2)
	v_add3_u32 v4, v8, v4, v7
	v_add3_u32 v79, v9, v79, v2
	s_wait_alu 0xfffe
	s_cbranch_vccnz .LBB0_8
; %bb.7:                                ;   in Loop: Header=BB0_2 Depth=1
	v_dual_mov_b32 v7, v80 :: v_dual_mov_b32 v8, v81
	s_branch .LBB0_2
.LBB0_8:
	s_load_b64 s[0:1], s[0:1], 0x28
	v_mul_hi_u32 v2, 0x3483484, v0
	s_lshl_b64 s[2:3], s[6:7], 3
                                        ; implicit-def: $vgpr8_vgpr9
                                        ; implicit-def: $vgpr12_vgpr13
                                        ; implicit-def: $vgpr16_vgpr17
                                        ; implicit-def: $vgpr20_vgpr21
                                        ; implicit-def: $vgpr28_vgpr29
                                        ; implicit-def: $vgpr32_vgpr33
                                        ; implicit-def: $vgpr36_vgpr37
                                        ; implicit-def: $vgpr40_vgpr41
                                        ; implicit-def: $vgpr56_vgpr57
                                        ; implicit-def: $vgpr52_vgpr53
                                        ; implicit-def: $vgpr48_vgpr49
                                        ; implicit-def: $vgpr44_vgpr45
                                        ; implicit-def: $vgpr24_vgpr25
	s_delay_alu instid0(VALU_DEP_1) | instskip(NEXT) | instid1(VALU_DEP_1)
	v_mul_u32_u24_e32 v2, 0x4e, v2
	v_sub_nc_u32_e32 v82, v0, v2
	s_wait_kmcnt 0x0
	v_cmp_gt_u64_e32 vcc_lo, s[0:1], v[80:81]
	s_delay_alu instid0(VALU_DEP_2) | instskip(NEXT) | instid1(VALU_DEP_1)
	v_cmp_gt_u32_e64 s0, 0x42, v82
	s_and_b32 s1, vcc_lo, s0
	s_wait_alu 0xfffe
	s_and_saveexec_b32 s6, s1
	s_cbranch_execz .LBB0_10
; %bb.9:
	s_add_nc_u64 s[12:13], s[12:13], s[2:3]
	v_mov_b32_e32 v83, 0
	s_load_b64 s[12:13], s[12:13], 0x0
	s_wait_kmcnt 0x0
	v_mul_lo_u32 v0, s13, v80
	v_mul_lo_u32 v2, s12, v81
	v_mad_co_u64_u32 v[5:6], null, s12, v80, 0
	s_delay_alu instid0(VALU_DEP_1) | instskip(SKIP_1) | instid1(VALU_DEP_2)
	v_add3_u32 v6, v6, v2, v0
	v_lshlrev_b64_e32 v[2:3], 4, v[3:4]
	v_lshlrev_b64_e32 v[5:6], 4, v[5:6]
	s_delay_alu instid0(VALU_DEP_1) | instskip(SKIP_1) | instid1(VALU_DEP_2)
	v_add_co_u32 v0, s1, s8, v5
	s_wait_alu 0xf1ff
	v_add_co_ci_u32_e64 v6, s1, s9, v6, s1
	v_lshlrev_b64_e32 v[4:5], 4, v[82:83]
	s_delay_alu instid0(VALU_DEP_3) | instskip(SKIP_1) | instid1(VALU_DEP_3)
	v_add_co_u32 v0, s1, v0, v2
	s_wait_alu 0xf1ff
	v_add_co_ci_u32_e64 v3, s1, v6, v3, s1
	s_delay_alu instid0(VALU_DEP_2) | instskip(SKIP_1) | instid1(VALU_DEP_2)
	v_add_co_u32 v2, s1, v0, v4
	s_wait_alu 0xf1ff
	v_add_co_ci_u32_e64 v3, s1, v3, v5, s1
	s_clause 0xc
	global_load_b128 v[22:25], v[2:3], off
	global_load_b128 v[42:45], v[2:3], off offset:1056
	global_load_b128 v[46:49], v[2:3], off offset:2112
	;; [unrolled: 1-line block ×12, first 2 shown]
.LBB0_10:
	s_wait_alu 0xfffe
	s_or_b32 exec_lo, exec_lo, s6
	s_wait_loadcnt 0x0
	v_add_f64_e64 v[70:71], v[44:45], -v[8:9]
	s_mov_b32 s22, 0x42a4c3d2
	s_mov_b32 s23, 0xbfea55e2
	v_add_f64_e32 v[91:92], v[6:7], v[42:43]
	v_add_f64_e64 v[68:69], v[48:49], -v[12:13]
	s_mov_b32 s20, 0x1ea71119
	s_mov_b32 s24, 0x2ef20147
	s_mov_b32 s21, 0x3fe22d96
	s_mov_b32 s25, 0xbfedeba7
	v_add_f64_e32 v[95:96], v[10:11], v[46:47]
	v_add_f64_e64 v[62:63], v[52:53], -v[16:17]
	s_mov_b32 s18, 0xb2365da1
	s_mov_b32 s26, 0x4bc48dbf
	;; [unrolled: 6-line block ×4, first 2 shown]
	s_mov_b32 s13, 0xbfe7f3cc
	s_mov_b32 s31, 0x3fefc445
	v_add_f64_e32 v[76:77], v[26:27], v[38:39]
	s_mov_b32 s8, 0xebaa3ed8
	s_mov_b32 s34, 0x4267c47c
	;; [unrolled: 1-line block ×4, first 2 shown]
	v_add_f64_e32 v[72:73], v[30:31], v[34:35]
	s_mov_b32 s6, 0xe00740e9
	s_mov_b32 s7, 0x3fec55a7
	v_mul_hi_u32 v0, 0xaaaaaaab, v1
	v_mul_f64_e32 v[85:86], s[22:23], v[70:71]
	s_wait_alu 0xfffe
	v_mul_f64_e32 v[89:90], s[24:25], v[68:69]
	s_delay_alu instid0(VALU_DEP_3) | instskip(SKIP_1) | instid1(VALU_DEP_2)
	v_lshrrev_b32_e32 v0, 1, v0
	v_mul_f64_e32 v[83:84], s[26:27], v[62:63]
	v_lshl_add_u32 v0, v0, 1, v0
	v_mul_f64_e32 v[74:75], s[28:29], v[60:61]
	s_delay_alu instid0(VALU_DEP_2) | instskip(SKIP_1) | instid1(VALU_DEP_2)
	v_sub_nc_u32_e32 v0, v1, v0
	v_mul_f64_e32 v[64:65], s[30:31], v[4:5]
	v_mul_u32_u24_e32 v0, 0x35a, v0
	v_fma_f64 v[2:3], v[91:92], s[20:21], -v[85:86]
	v_fma_f64 v[58:59], v[95:96], s[18:19], -v[89:90]
	;; [unrolled: 1-line block ×5, first 2 shown]
	v_add_f64_e32 v[2:3], v[22:23], v[2:3]
	s_delay_alu instid0(VALU_DEP_1) | instskip(SKIP_1) | instid1(VALU_DEP_2)
	v_add_f64_e32 v[2:3], v[58:59], v[2:3]
	v_add_f64_e64 v[58:59], v[36:37], -v[32:33]
	v_add_f64_e32 v[2:3], v[66:67], v[2:3]
	s_delay_alu instid0(VALU_DEP_2) | instskip(NEXT) | instid1(VALU_DEP_2)
	v_mul_f64_e32 v[66:67], s[34:35], v[58:59]
	v_add_f64_e32 v[2:3], v[97:98], v[2:3]
	s_delay_alu instid0(VALU_DEP_2) | instskip(NEXT) | instid1(VALU_DEP_2)
	v_fma_f64 v[97:98], v[72:73], s[6:7], -v[66:67]
	v_add_f64_e32 v[2:3], v[99:100], v[2:3]
	s_delay_alu instid0(VALU_DEP_1)
	v_add_f64_e32 v[2:3], v[97:98], v[2:3]
	v_lshlrev_b32_e32 v97, 3, v0
	s_and_saveexec_b32 s1, s0
	s_cbranch_execz .LBB0_12
; %bb.11:
	v_add_f64_e32 v[0:1], v[42:43], v[22:23]
	v_mul_f64_e32 v[98:99], s[16:17], v[91:92]
	v_mul_f64_e32 v[100:101], s[12:13], v[91:92]
	v_mul_f64_e32 v[102:103], s[18:19], v[91:92]
	v_mul_f64_e32 v[104:105], s[8:9], v[91:92]
	v_mul_f64_e32 v[106:107], s[6:7], v[91:92]
	v_mul_f64_e32 v[91:92], s[20:21], v[91:92]
	s_mov_b32 s43, 0x3fedeba7
	s_mov_b32 s42, s24
	;; [unrolled: 1-line block ×6, first 2 shown]
	v_mul_f64_e32 v[108:109], s[18:19], v[95:96]
	v_mul_f64_e32 v[110:111], s[6:7], v[95:96]
	;; [unrolled: 1-line block ×6, first 2 shown]
	s_mov_b32 s41, 0xbfefc445
	s_mov_b32 s40, s30
	;; [unrolled: 1-line block ×6, first 2 shown]
	v_mul_f64_e32 v[128:129], s[20:21], v[93:94]
	v_mul_f64_e32 v[130:131], s[6:7], v[93:94]
	;; [unrolled: 1-line block ×6, first 2 shown]
	v_add_f64_e32 v[0:1], v[46:47], v[0:1]
	v_fma_f64 v[118:119], v[70:71], s[36:37], v[98:99]
	v_fma_f64 v[98:99], v[70:71], s[26:27], v[98:99]
	;; [unrolled: 1-line block ×9, first 2 shown]
	v_add_f64_e32 v[85:86], v[85:86], v[91:92]
	v_fma_f64 v[70:71], v[70:71], s[34:35], v[106:107]
	v_mul_f64_e32 v[91:92], s[16:17], v[93:94]
	v_mul_f64_e32 v[106:107], s[12:13], v[93:94]
	;; [unrolled: 1-line block ×3, first 2 shown]
	v_add_f64_e32 v[89:90], v[89:90], v[108:109]
	v_fma_f64 v[108:109], v[68:69], s[46:47], v[110:111]
	v_fma_f64 v[110:111], v[68:69], s[34:35], v[110:111]
	;; [unrolled: 1-line block ×16, first 2 shown]
	v_add_f64_e32 v[0:1], v[50:51], v[0:1]
	v_add_f64_e32 v[95:96], v[22:23], v[118:119]
	;; [unrolled: 1-line block ×12, first 2 shown]
	v_mul_f64_e32 v[70:71], s[12:13], v[87:88]
	v_mul_f64_e32 v[126:127], s[20:21], v[87:88]
	;; [unrolled: 1-line block ×3, first 2 shown]
	v_add_f64_e32 v[83:84], v[83:84], v[91:92]
	v_fma_f64 v[91:92], v[62:63], s[28:29], v[106:107]
	v_fma_f64 v[106:107], v[62:63], s[38:39], v[106:107]
	;; [unrolled: 1-line block ×4, first 2 shown]
	v_add_f64_e32 v[0:1], v[54:55], v[0:1]
	v_add_f64_e32 v[93:94], v[108:109], v[95:96]
	;; [unrolled: 1-line block ×12, first 2 shown]
	v_mul_f64_e32 v[89:90], s[8:9], v[76:77]
	v_mul_f64_e32 v[112:113], s[18:19], v[76:77]
	;; [unrolled: 1-line block ×6, first 2 shown]
	v_add_f64_e32 v[70:71], v[74:75], v[70:71]
	v_fma_f64 v[74:75], v[60:61], s[22:23], v[126:127]
	v_fma_f64 v[120:121], v[60:61], s[44:45], v[126:127]
	;; [unrolled: 1-line block ×10, first 2 shown]
	v_add_f64_e32 v[0:1], v[38:39], v[0:1]
	v_add_f64_e32 v[87:88], v[91:92], v[93:94]
	;; [unrolled: 1-line block ×12, first 2 shown]
	v_mul_f64_e32 v[83:84], s[6:7], v[72:73]
	v_mul_f64_e32 v[85:86], s[8:9], v[72:73]
	;; [unrolled: 1-line block ×6, first 2 shown]
	v_add_f64_e32 v[64:65], v[64:65], v[89:90]
	v_fma_f64 v[89:90], v[4:5], s[42:43], v[112:113]
	v_fma_f64 v[112:113], v[4:5], s[24:25], v[112:113]
	;; [unrolled: 1-line block ×10, first 2 shown]
	v_add_f64_e32 v[0:1], v[34:35], v[0:1]
	v_add_f64_e32 v[74:75], v[74:75], v[87:88]
	v_add_f64_e32 v[76:77], v[120:121], v[91:92]
	v_add_f64_e32 v[87:88], v[122:123], v[93:94]
	v_add_f64_e32 v[91:92], v[124:125], v[95:96]
	v_add_f64_e32 v[93:94], v[126:127], v[98:99]
	v_add_f64_e32 v[95:96], v[134:135], v[100:101]
	v_add_f64_e32 v[98:99], v[136:137], v[102:103]
	v_add_f64_e32 v[100:101], v[138:139], v[104:105]
	v_add_f64_e32 v[60:61], v[60:61], v[62:63]
	v_add_f64_e32 v[62:63], v[70:71], v[68:69]
	v_add_f64_e32 v[22:23], v[140:141], v[22:23]
	v_add_f64_e32 v[66:67], v[66:67], v[83:84]
	v_fma_f64 v[68:69], v[58:59], s[40:41], v[85:86]
	v_fma_f64 v[70:71], v[58:59], s[30:31], v[85:86]
	;; [unrolled: 1-line block ×10, first 2 shown]
	v_add_f64_e32 v[0:1], v[30:31], v[0:1]
	v_add_f64_e32 v[72:73], v[89:90], v[74:75]
	;; [unrolled: 1-line block ×24, first 2 shown]
	v_mul_u32_u24_e32 v60, 0x68, v82
	s_delay_alu instid0(VALU_DEP_1) | instskip(SKIP_1) | instid1(VALU_DEP_1)
	v_add3_u32 v60, 0, v60, v97
	v_add_f64_e32 v[0:1], v[18:19], v[0:1]
	v_add_f64_e32 v[0:1], v[14:15], v[0:1]
	s_delay_alu instid0(VALU_DEP_1) | instskip(NEXT) | instid1(VALU_DEP_1)
	v_add_f64_e32 v[0:1], v[10:11], v[0:1]
	v_add_f64_e32 v[0:1], v[6:7], v[0:1]
	ds_store_2addr_b64 v60, v[74:75], v[70:71] offset0:4 offset1:5
	ds_store_2addr_b64 v60, v[64:65], v[62:63] offset0:6 offset1:7
	;; [unrolled: 1-line block ×5, first 2 shown]
	ds_store_2addr_b64 v60, v[0:1], v[4:5] offset1:1
	ds_store_b64 v60, v[22:23] offset:96
.LBB0_12:
	s_wait_alu 0xfffe
	s_or_b32 exec_lo, exec_lo, s1
	v_add_f64_e64 v[95:96], v[42:43], -v[6:7]
	v_add_f64_e32 v[89:90], v[8:9], v[44:45]
	v_add_f64_e64 v[93:94], v[46:47], -v[10:11]
	v_add_f64_e32 v[83:84], v[12:13], v[48:49]
	;; [unrolled: 2-line block ×5, first 2 shown]
	v_add_f64_e64 v[22:23], v[34:35], -v[30:31]
	v_lshlrev_b32_e32 v34, 3, v82
	global_wb scope:SCOPE_SE
	s_wait_dscnt 0x0
	s_barrier_signal -1
	s_barrier_wait -1
	global_inv scope:SCOPE_SE
	v_add3_u32 v99, 0, v97, v34
	s_add_nc_u64 s[2:3], s[14:15], s[2:3]
	v_mul_f64_e32 v[91:92], s[22:23], v[95:96]
	v_mul_f64_e32 v[85:86], s[24:25], v[93:94]
	;; [unrolled: 1-line block ×6, first 2 shown]
	v_fma_f64 v[0:1], v[89:90], s[20:21], v[91:92]
	v_fma_f64 v[4:5], v[83:84], s[18:19], v[85:86]
	;; [unrolled: 1-line block ×4, first 2 shown]
	s_delay_alu instid0(VALU_DEP_4) | instskip(NEXT) | instid1(VALU_DEP_1)
	v_add_f64_e32 v[0:1], v[24:25], v[0:1]
	v_add_f64_e32 v[0:1], v[4:5], v[0:1]
	;; [unrolled: 1-line block ×3, first 2 shown]
	s_delay_alu instid0(VALU_DEP_2) | instskip(SKIP_1) | instid1(VALU_DEP_2)
	v_add_f64_e32 v[0:1], v[6:7], v[0:1]
	v_fma_f64 v[6:7], v[14:15], s[8:9], v[18:19]
	v_add_f64_e32 v[0:1], v[30:31], v[0:1]
	s_delay_alu instid0(VALU_DEP_4) | instskip(NEXT) | instid1(VALU_DEP_2)
	v_fma_f64 v[30:31], v[4:5], s[6:7], v[10:11]
	v_add_f64_e32 v[0:1], v[6:7], v[0:1]
	s_delay_alu instid0(VALU_DEP_1) | instskip(SKIP_3) | instid1(VALU_DEP_1)
	v_add_f64_e32 v[6:7], v[30:31], v[0:1]
	v_add_nc_u32_e32 v30, 0, v34
	ds_load_b64 v[0:1], v99
	v_add_nc_u32_e32 v98, v30, v97
	v_add_nc_u32_e32 v100, 0x400, v98
	;; [unrolled: 1-line block ×5, first 2 shown]
	ds_load_2addr_b64 v[74:77], v98 offset0:78 offset1:156
	ds_load_2addr_b64 v[70:73], v100 offset0:106 offset1:184
	;; [unrolled: 1-line block ×5, first 2 shown]
	global_wb scope:SCOPE_SE
	s_wait_dscnt 0x0
	s_barrier_signal -1
	s_barrier_wait -1
	global_inv scope:SCOPE_SE
	s_and_saveexec_b32 s33, s0
	s_cbranch_execz .LBB0_14
; %bb.13:
	v_add_f64_e32 v[44:45], v[44:45], v[24:25]
	s_mov_b32 s14, 0x2ef20147
	s_mov_b32 s26, 0x24c2f84
	;; [unrolled: 1-line block ×8, first 2 shown]
	s_wait_alu 0xfffe
	v_mul_f64_e32 v[102:103], s[26:27], v[95:96]
	s_mov_b32 s38, 0x66966769
	v_mul_f64_e32 v[104:105], s[28:29], v[95:96]
	s_mov_b32 s39, 0xbfefc445
	s_mov_b32 s31, 0x3fe5384d
	;; [unrolled: 1-line block ×8, first 2 shown]
	s_wait_alu 0xfffe
	s_mov_b32 s34, s38
	v_mul_f64_e32 v[110:111], s[30:31], v[93:94]
	s_mov_b32 s30, 0x93053d00
	s_mov_b32 s31, 0xbfef11f4
	;; [unrolled: 1-line block ×3, first 2 shown]
	v_mul_f64_e32 v[106:107], s[36:37], v[93:94]
	v_mul_f64_e32 v[108:109], s[28:29], v[93:94]
	s_wait_alu 0xfffe
	v_mul_f64_e32 v[112:113], s[34:35], v[93:94]
	s_mov_b32 s1, 0x3fbedb7d
	s_mov_b32 s41, 0x3fedeba7
	;; [unrolled: 1-line block ×3, first 2 shown]
	v_mul_f64_e32 v[122:123], s[36:37], v[87:88]
	v_mul_f64_e32 v[124:125], s[26:27], v[87:88]
	s_wait_alu 0xfffe
	v_mul_f64_e32 v[126:127], s[40:41], v[87:88]
	s_mov_b32 s41, 0x3fcea1e5
	s_mov_b32 s40, s28
	s_wait_alu 0xfffe
	v_mul_f64_e32 v[138:139], s[40:41], v[54:55]
	v_add_f64_e32 v[44:45], v[48:49], v[44:45]
	v_mul_f64_e32 v[48:49], s[20:21], v[89:90]
	s_mov_b32 s20, 0xd0032e0c
	s_mov_b32 s21, 0xbfe7f3cc
	s_wait_alu 0xfffe
	v_fma_f64 v[116:117], v[89:90], s[20:21], -v[102:103]
	v_fma_f64 v[102:103], v[89:90], s[20:21], v[102:103]
	v_fma_f64 v[118:119], v[89:90], s[30:31], -v[104:105]
	v_fma_f64 v[104:105], v[89:90], s[30:31], v[104:105]
	;; [unrolled: 2-line block ×7, first 2 shown]
	v_add_f64_e32 v[44:45], v[52:53], v[44:45]
	v_mul_f64_e32 v[52:53], s[24:25], v[95:96]
	s_mov_b32 s25, 0x3fddbe06
	v_add_f64_e64 v[48:49], v[48:49], -v[91:92]
	s_wait_alu 0xfffe
	v_mul_f64_e32 v[93:94], s[24:25], v[93:94]
	v_mul_f64_e32 v[136:137], s[24:25], v[54:55]
	v_add_f64_e32 v[102:103], v[24:25], v[102:103]
	v_add_f64_e32 v[104:105], v[24:25], v[104:105]
	;; [unrolled: 1-line block ×3, first 2 shown]
	v_mul_f64_e32 v[56:57], s[14:15], v[95:96]
	v_mul_f64_e32 v[95:96], s[38:39], v[95:96]
	v_fma_f64 v[91:92], v[89:90], s[22:23], -v[52:53]
	v_fma_f64 v[52:53], v[89:90], s[22:23], v[52:53]
	v_fma_f64 v[134:135], v[83:84], s[22:23], -v[93:94]
	v_add_f64_e32 v[48:49], v[24:25], v[48:49]
	v_add_f64_e32 v[40:41], v[40:41], v[44:45]
	v_mul_f64_e32 v[44:45], s[18:19], v[83:84]
	v_fma_f64 v[114:115], v[89:90], s[18:19], -v[56:57]
	v_fma_f64 v[56:57], v[89:90], s[18:19], v[56:57]
	v_fma_f64 v[120:121], v[89:90], s[0:1], v[95:96]
	v_add_f64_e32 v[91:92], v[24:25], v[91:92]
	v_add_f64_e32 v[36:37], v[36:37], v[40:41]
	v_fma_f64 v[40:41], v[89:90], s[0:1], -v[95:96]
	v_mul_f64_e32 v[89:90], s[16:17], v[46:47]
	s_mov_b32 s16, 0x1ea71119
	s_mov_b32 s17, 0x3fe22d96
	v_mul_f64_e32 v[95:96], s[38:39], v[87:88]
	v_mul_f64_e32 v[87:88], s[24:25], v[87:88]
	v_add_f64_e64 v[44:45], v[44:45], -v[85:86]
	s_wait_alu 0xfffe
	v_fma_f64 v[85:86], v[83:84], s[16:17], -v[106:107]
	v_fma_f64 v[106:107], v[83:84], s[16:17], v[106:107]
	v_fma_f64 v[83:84], v[83:84], s[22:23], v[93:94]
	v_add_f64_e32 v[93:94], v[24:25], v[114:115]
	v_add_f64_e32 v[56:57], v[24:25], v[56:57]
	;; [unrolled: 1-line block ×5, first 2 shown]
	v_mul_f64_e32 v[120:121], s[38:39], v[54:55]
	v_fma_f64 v[140:141], v[46:47], s[16:17], -v[122:123]
	v_fma_f64 v[122:123], v[46:47], s[16:17], v[122:123]
	v_add_f64_e32 v[31:32], v[32:33], v[36:37]
	v_add_f64_e32 v[36:37], v[24:25], v[40:41]
	;; [unrolled: 1-line block ×3, first 2 shown]
	v_mul_f64_e32 v[40:41], s[12:13], v[42:43]
	s_mov_b32 s13, 0x3fea55e2
	s_mov_b32 s12, s36
	v_mul_f64_e32 v[52:53], s[14:15], v[54:55]
	s_wait_alu 0xfffe
	v_mul_f64_e32 v[54:55], s[12:13], v[54:55]
	v_add_f64_e64 v[50:51], v[89:90], -v[50:51]
	v_fma_f64 v[89:90], v[46:47], s[0:1], -v[95:96]
	v_fma_f64 v[95:96], v[46:47], s[0:1], v[95:96]
	v_fma_f64 v[146:147], v[46:47], s[22:23], -v[87:88]
	v_fma_f64 v[46:47], v[46:47], s[22:23], v[87:88]
	v_add_f64_e32 v[44:45], v[44:45], v[48:49]
	v_add_f64_e32 v[48:49], v[85:86], v[91:92]
	;; [unrolled: 1-line block ×9, first 2 shown]
	v_mul_f64_e32 v[104:105], s[26:27], v[38:39]
	v_mul_f64_e32 v[108:109], s[14:15], v[38:39]
	;; [unrolled: 1-line block ×3, first 2 shown]
	v_fma_f64 v[112:113], v[42:43], s[0:1], -v[120:121]
	v_fma_f64 v[114:115], v[42:43], s[0:1], v[120:121]
	v_fma_f64 v[116:117], v[42:43], s[22:23], -v[136:137]
	v_fma_f64 v[118:119], v[42:43], s[22:23], v[136:137]
	v_fma_f64 v[120:121], v[42:43], s[30:31], -v[138:139]
	v_add_f64_e32 v[28:29], v[28:29], v[31:32]
	v_add_f64_e32 v[31:32], v[128:129], v[36:37]
	;; [unrolled: 1-line block ×3, first 2 shown]
	v_mul_f64_e32 v[36:37], s[8:9], v[14:15]
	v_mul_f64_e32 v[106:107], s[36:37], v[38:39]
	;; [unrolled: 1-line block ×3, first 2 shown]
	v_add_f64_e64 v[26:27], v[40:41], -v[26:27]
	v_fma_f64 v[40:41], v[42:43], s[18:19], -v[52:53]
	v_fma_f64 v[52:53], v[42:43], s[18:19], v[52:53]
	v_fma_f64 v[128:129], v[42:43], s[30:31], v[138:139]
	v_fma_f64 v[130:131], v[42:43], s[16:17], -v[54:55]
	v_fma_f64 v[42:43], v[42:43], s[16:17], v[54:55]
	v_add_f64_e32 v[44:45], v[50:51], v[44:45]
	v_add_f64_e32 v[48:49], v[89:90], v[48:49]
	;; [unrolled: 1-line block ×9, first 2 shown]
	v_mul_f64_e32 v[89:90], s[28:29], v[22:23]
	v_mul_f64_e32 v[91:92], s[26:27], v[22:23]
	;; [unrolled: 1-line block ×3, first 2 shown]
	v_fma_f64 v[102:103], v[14:15], s[20:21], v[104:105]
	v_fma_f64 v[122:123], v[14:15], s[18:19], -v[108:109]
	v_fma_f64 v[108:109], v[14:15], s[18:19], v[108:109]
	v_fma_f64 v[124:125], v[14:15], s[30:31], -v[110:111]
	v_fma_f64 v[110:111], v[14:15], s[30:31], v[110:111]
	v_add_f64_e32 v[20:21], v[20:21], v[28:29]
	v_add_f64_e32 v[28:29], v[144:145], v[31:32]
	v_add_f64_e32 v[24:25], v[95:96], v[24:25]
	v_mul_f64_e32 v[31:32], s[6:7], v[4:5]
	v_mul_f64_e32 v[95:96], s[12:13], v[22:23]
	;; [unrolled: 1-line block ×3, first 2 shown]
	v_add_f64_e64 v[18:19], v[36:37], -v[18:19]
	v_fma_f64 v[36:37], v[14:15], s[20:21], -v[104:105]
	v_fma_f64 v[104:105], v[14:15], s[16:17], -v[106:107]
	v_fma_f64 v[106:107], v[14:15], s[16:17], v[106:107]
	v_fma_f64 v[126:127], v[14:15], s[22:23], -v[38:39]
	v_fma_f64 v[14:15], v[14:15], s[22:23], v[38:39]
	v_add_f64_e32 v[26:27], v[26:27], v[44:45]
	v_add_f64_e32 v[38:39], v[40:41], v[48:49]
	;; [unrolled: 1-line block ×9, first 2 shown]
	v_fma_f64 v[56:57], v[4:5], s[20:21], v[91:92]
	v_fma_f64 v[83:84], v[4:5], s[18:19], -v[93:94]
	v_fma_f64 v[85:86], v[4:5], s[18:19], v[93:94]
	v_add_f64_e32 v[16:17], v[16:17], v[20:21]
	v_add_f64_e32 v[20:21], v[116:117], v[28:29]
	;; [unrolled: 1-line block ×3, first 2 shown]
	v_add_f64_e64 v[10:11], v[31:32], -v[10:11]
	v_fma_f64 v[28:29], v[4:5], s[30:31], -v[89:90]
	v_fma_f64 v[31:32], v[4:5], s[30:31], v[89:90]
	v_fma_f64 v[52:53], v[4:5], s[20:21], -v[91:92]
	v_fma_f64 v[87:88], v[4:5], s[16:17], -v[95:96]
	v_fma_f64 v[89:90], v[4:5], s[16:17], v[95:96]
	v_fma_f64 v[91:92], v[4:5], s[0:1], -v[22:23]
	v_fma_f64 v[4:5], v[4:5], s[0:1], v[22:23]
	v_add_f64_e32 v[18:19], v[18:19], v[26:27]
	v_add_f64_e32 v[22:23], v[36:37], v[38:39]
	;; [unrolled: 1-line block ×24, first 2 shown]
	v_mul_u32_u24_e32 v20, 0x60, v82
	s_delay_alu instid0(VALU_DEP_1)
	v_add3_u32 v20, v30, v20, v97
	ds_store_2addr_b64 v20, v[22:23], v[26:27] offset0:4 offset1:5
	ds_store_2addr_b64 v20, v[28:29], v[4:5] offset0:6 offset1:7
	;; [unrolled: 1-line block ×4, first 2 shown]
	ds_store_2addr_b64 v20, v[8:9], v[18:19] offset1:1
	ds_store_2addr_b64 v20, v[10:11], v[12:13] offset0:2 offset1:3
	ds_store_b64 v20, v[16:17] offset:96
.LBB0_14:
	s_or_b32 exec_lo, exec_lo, s33
	v_and_b32_e32 v4, 0xff, v82
	s_load_b64 s[2:3], s[2:3], 0x0
	global_wb scope:SCOPE_SE
	s_wait_dscnt 0x0
	s_wait_kmcnt 0x0
	s_barrier_signal -1
	s_barrier_wait -1
	v_mul_lo_u16 v4, 0x4f, v4
	global_inv scope:SCOPE_SE
	s_mov_b32 s6, 0xf8bb580b
	s_mov_b32 s12, 0x8eee2c13
	;; [unrolled: 1-line block ×3, first 2 shown]
	v_lshrrev_b16 v16, 10, v4
	s_mov_b32 s7, 0xbfe14ced
	s_mov_b32 s13, 0xbfed1bb4
	;; [unrolled: 1-line block ×4, first 2 shown]
	v_mul_lo_u16 v4, v16, 13
	s_mov_b32 s16, 0xfd768dbf
	s_mov_b32 s15, 0xbfe82f19
	;; [unrolled: 1-line block ×4, first 2 shown]
	v_sub_nc_u16 v4, v82, v4
	s_mov_b32 s22, 0xd9c712b6
	s_mov_b32 s20, 0x640f44db
	;; [unrolled: 1-line block ×4, first 2 shown]
	v_and_b32_e32 v17, 0xff, v4
	s_mov_b32 s21, 0xbfc2375f
	s_mov_b32 s26, 0x7f775887
	;; [unrolled: 1-line block ×4, first 2 shown]
	v_mul_u32_u24_e32 v4, 10, v17
	s_mov_b32 s31, 0x3fe14ced
	s_wait_alu 0xfffe
	s_mov_b32 s18, s16
	s_mov_b32 s28, s8
	;; [unrolled: 1-line block ×3, first 2 shown]
	v_lshlrev_b32_e32 v4, 4, v4
	s_mov_b32 s36, 0x9bcd5057
	s_mov_b32 s27, 0xbfe4f49e
	s_mov_b32 s37, 0xbfeeb42a
	s_mov_b32 s35, 0x3fed1bb4
	s_clause 0x9
	global_load_b128 v[8:11], v4, s[4:5]
	global_load_b128 v[12:15], v4, s[4:5] offset:16
	global_load_b128 v[18:21], v4, s[4:5] offset:144
	;; [unrolled: 1-line block ×9, first 2 shown]
	ds_load_2addr_b64 v[42:45], v98 offset0:78 offset1:156
	ds_load_2addr_b64 v[106:109], v100 offset0:106 offset1:184
	s_mov_b32 s34, s12
	v_and_b32_e32 v16, 0xffff, v16
	v_lshlrev_b32_e32 v17, 3, v17
	v_cmp_gt_u32_e64 s0, 0x41, v82
	s_delay_alu instid0(VALU_DEP_3)
	v_mad_u32_u24 v16, 0x478, v16, 0
	s_wait_loadcnt_dscnt 0x901
	v_mul_f64_e32 v[4:5], v[42:43], v[10:11]
	s_wait_loadcnt 0x8
	v_mul_f64_e32 v[26:27], v[44:45], v[14:15]
	v_mul_f64_e32 v[14:15], v[76:77], v[14:15]
	s_wait_loadcnt_dscnt 0x600
	v_mul_f64_e32 v[46:47], v[106:107], v[24:25]
	s_wait_loadcnt 0x5
	v_mul_f64_e32 v[56:57], v[66:67], v[40:41]
	v_mul_f64_e32 v[24:25], v[70:71], v[24:25]
	v_fma_f64 v[36:37], v[74:75], v[8:9], v[4:5]
	v_mul_f64_e32 v[4:5], v[74:75], v[10:11]
	v_mul_f64_e32 v[10:11], v[68:69], v[20:21]
	v_fma_f64 v[30:31], v[76:77], v[12:13], v[26:27]
	ds_load_2addr_b64 v[26:29], v101 offset0:62 offset1:140
	s_wait_dscnt 0x0
	v_mul_f64_e32 v[20:21], v[28:29], v[20:21]
	v_mul_f64_e32 v[40:41], v[26:27], v[40:41]
	v_add_f64_e32 v[48:49], v[0:1], v[36:37]
	v_fma_f64 v[54:55], v[42:43], v[8:9], -v[4:5]
	v_fma_f64 v[32:33], v[28:29], v[18:19], -v[10:11]
	s_wait_loadcnt 0x4
	v_mul_f64_e32 v[42:43], v[108:109], v[52:53]
	v_fma_f64 v[28:29], v[70:71], v[22:23], v[46:47]
	ds_load_2addr_b64 v[8:11], v35 offset0:134 offset1:212
	s_wait_loadcnt 0x3
	v_mul_f64_e32 v[70:71], v[60:61], v[85:86]
	v_fma_f64 v[46:47], v[44:45], v[12:13], -v[14:15]
	v_fma_f64 v[4:5], v[26:27], v[38:39], -v[56:57]
	ds_load_2addr_b64 v[12:15], v34 offset0:34 offset1:112
	v_mul_f64_e32 v[52:53], v[72:73], v[52:53]
	v_fma_f64 v[44:45], v[66:67], v[38:39], v[40:41]
	v_add_f64_e32 v[74:75], v[48:49], v[30:31]
	v_fma_f64 v[48:49], v[68:69], v[18:19], v[20:21]
	v_add_f64_e64 v[18:19], v[54:55], -v[32:33]
	s_wait_loadcnt_dscnt 0x201
	v_mul_f64_e32 v[20:21], v[8:9], v[89:90]
	v_fma_f64 v[26:27], v[72:73], v[50:51], v[42:43]
	s_wait_loadcnt 0x1
	v_mul_f64_e32 v[68:69], v[58:59], v[93:94]
	s_wait_dscnt 0x0
	v_mul_f64_e32 v[72:73], v[14:15], v[85:86]
	v_fma_f64 v[42:43], v[106:107], v[22:23], -v[24:25]
	v_fma_f64 v[24:25], v[14:15], v[83:84], -v[70:71]
	v_add_f64_e64 v[14:15], v[46:47], -v[4:5]
	s_wait_loadcnt 0x0
	v_mul_f64_e32 v[22:23], v[10:11], v[104:105]
	v_mul_f64_e32 v[93:94], v[12:13], v[93:94]
	v_add_f64_e32 v[56:57], v[74:75], v[28:29]
	v_add_f64_e32 v[40:41], v[36:37], v[48:49]
	v_mul_f64_e32 v[70:71], s[6:7], v[18:19]
	v_mul_f64_e32 v[74:75], s[12:13], v[18:19]
	;; [unrolled: 1-line block ×5, first 2 shown]
	v_fma_f64 v[34:35], v[62:63], v[87:88], v[20:21]
	v_mul_f64_e32 v[62:63], v[62:63], v[89:90]
	v_mul_f64_e32 v[89:90], v[64:65], v[104:105]
	v_fma_f64 v[66:67], v[60:61], v[83:84], v[72:73]
	v_fma_f64 v[38:39], v[12:13], v[91:92], -v[68:69]
	v_add_f64_e64 v[12:13], v[42:43], -v[24:25]
	v_mul_f64_e32 v[68:69], s[12:13], v[14:15]
	v_mul_f64_e32 v[72:73], s[14:15], v[14:15]
	s_wait_alu 0xfffe
	v_mul_f64_e32 v[83:84], s[18:19], v[14:15]
	v_mul_f64_e32 v[95:96], s[28:29], v[14:15]
	;; [unrolled: 1-line block ×3, first 2 shown]
	v_fma_f64 v[58:59], v[58:59], v[91:92], v[93:94]
	v_add_f64_e32 v[20:21], v[56:57], v[26:27]
	v_fma_f64 v[56:57], v[108:109], v[50:51], -v[52:53]
	v_add_f64_e32 v[50:51], v[30:31], v[44:45]
	v_fma_f64 v[52:53], v[64:65], v[102:103], v[22:23]
	v_fma_f64 v[22:23], v[40:41], s[24:25], v[70:71]
	v_fma_f64 v[64:65], v[40:41], s[22:23], v[74:75]
	v_fma_f64 v[74:75], v[40:41], s[22:23], -v[74:75]
	v_fma_f64 v[104:105], v[40:41], s[20:21], v[76:77]
	v_fma_f64 v[106:107], v[40:41], s[26:27], v[85:86]
	v_fma_f64 v[85:86], v[40:41], s[26:27], -v[85:86]
	v_fma_f64 v[108:109], v[40:41], s[36:37], v[18:19]
	v_fma_f64 v[18:19], v[40:41], s[36:37], -v[18:19]
	v_fma_f64 v[76:77], v[40:41], s[20:21], -v[76:77]
	;; [unrolled: 1-line block ×5, first 2 shown]
	v_add_f64_e32 v[8:9], v[28:29], v[66:67]
	v_mul_f64_e32 v[70:71], s[8:9], v[12:13]
	v_mul_f64_e32 v[87:88], s[18:19], v[12:13]
	;; [unrolled: 1-line block ×5, first 2 shown]
	v_add_f64_e32 v[20:21], v[20:21], v[34:35]
	v_add_f64_e64 v[10:11], v[56:57], -v[38:39]
	v_fma_f64 v[93:94], v[50:51], s[22:23], v[68:69]
	v_fma_f64 v[68:69], v[50:51], s[22:23], -v[68:69]
	v_fma_f64 v[101:102], v[50:51], s[26:27], v[72:73]
	v_fma_f64 v[72:73], v[50:51], s[26:27], -v[72:73]
	;; [unrolled: 2-line block ×5, first 2 shown]
	v_add_f64_e32 v[22:23], v[0:1], v[22:23]
	v_add_f64_e32 v[50:51], v[0:1], v[64:65]
	;; [unrolled: 1-line block ×11, first 2 shown]
	v_add_f64_e64 v[107:108], v[60:61], -v[62:63]
	v_fma_f64 v[124:125], v[8:9], s[20:21], v[70:71]
	v_fma_f64 v[70:71], v[8:9], s[20:21], -v[70:71]
	v_fma_f64 v[126:127], v[8:9], s[36:37], v[87:88]
	v_fma_f64 v[87:88], v[8:9], s[36:37], -v[87:88]
	;; [unrolled: 2-line block ×5, first 2 shown]
	v_add_f64_e32 v[20:21], v[20:21], v[52:53]
	v_mul_f64_e32 v[116:117], s[14:15], v[10:11]
	v_mul_f64_e32 v[118:119], s[28:29], v[10:11]
	;; [unrolled: 1-line block ×5, first 2 shown]
	v_add_f64_e32 v[12:13], v[93:94], v[22:23]
	v_add_f64_e32 v[22:23], v[101:102], v[50:51]
	;; [unrolled: 1-line block ×11, first 2 shown]
	v_mul_f64_e32 v[76:77], s[16:17], v[107:108]
	v_mul_f64_e32 v[83:84], s[30:31], v[107:108]
	;; [unrolled: 1-line block ×5, first 2 shown]
	v_add_f64_e32 v[20:21], v[20:21], v[58:59]
	v_fma_f64 v[103:104], v[40:41], s[26:27], v[116:117]
	v_fma_f64 v[105:106], v[40:41], s[26:27], -v[116:117]
	v_fma_f64 v[107:108], v[40:41], s[20:21], v[118:119]
	v_fma_f64 v[109:110], v[40:41], s[20:21], -v[118:119]
	;; [unrolled: 2-line block ×5, first 2 shown]
	v_add_f64_e32 v[12:13], v[124:125], v[12:13]
	v_add_f64_e32 v[22:23], v[126:127], v[22:23]
	v_add_f64_e32 v[40:41], v[87:88], v[50:51]
	v_add_f64_e32 v[50:51], v[128:129], v[64:65]
	v_add_f64_e32 v[64:65], v[130:131], v[72:73]
	v_add_f64_e32 v[72:73], v[91:92], v[74:75]
	v_add_f64_e32 v[74:75], v[132:133], v[85:86]
	v_add_f64_e32 v[8:9], v[8:9], v[14:15]
	v_add_f64_e32 v[14:15], v[89:90], v[18:19]
	v_add_f64_e32 v[0:1], v[70:71], v[0:1]
	v_fma_f64 v[70:71], v[68:69], s[36:37], -v[76:77]
	v_fma_f64 v[85:86], v[68:69], s[26:27], v[93:94]
	v_fma_f64 v[87:88], v[68:69], s[26:27], -v[93:94]
	v_fma_f64 v[89:90], v[68:69], s[22:23], v[95:96]
	;; [unrolled: 2-line block ×3, first 2 shown]
	v_add_f64_e32 v[18:19], v[20:21], v[66:67]
	v_fma_f64 v[20:21], v[68:69], s[36:37], v[76:77]
	v_fma_f64 v[76:77], v[68:69], s[24:25], v[83:84]
	v_fma_f64 v[83:84], v[68:69], s[24:25], -v[83:84]
	v_fma_f64 v[68:69], v[68:69], s[20:21], -v[101:102]
	v_add_f64_e32 v[12:13], v[103:104], v[12:13]
	v_add_f64_e32 v[22:23], v[107:108], v[22:23]
	;; [unrolled: 1-line block ×21, first 2 shown]
	v_add3_u32 v69, v16, v17, v97
	v_add_nc_u32_e32 v68, 0xc00, v98
	ds_load_b64 v[64:65], v99
	global_wb scope:SCOPE_SE
	s_wait_dscnt 0x0
	s_barrier_signal -1
	s_barrier_wait -1
	global_inv scope:SCOPE_SE
	v_add_f64_e32 v[18:19], v[18:19], v[48:49]
	ds_store_2addr_b64 v69, v[22:23], v[40:41] offset0:26 offset1:39
	ds_store_2addr_b64 v69, v[50:51], v[72:73] offset0:52 offset1:65
	;; [unrolled: 1-line block ×4, first 2 shown]
	ds_store_b64 v69, v[0:1] offset:1040
	ds_store_2addr_b64 v69, v[18:19], v[20:21] offset1:13
	global_wb scope:SCOPE_SE
	s_wait_dscnt 0x0
	s_barrier_signal -1
	s_barrier_wait -1
	global_inv scope:SCOPE_SE
	ds_load_2addr_b64 v[16:19], v100 offset0:15 offset1:158
	ds_load_2addr_b64 v[20:23], v68 offset0:45 offset1:188
	ds_load_b64 v[40:41], v99
	ds_load_b64 v[50:51], v98 offset:5720
	s_and_saveexec_b32 s1, s0
	s_cbranch_execz .LBB0_16
; %bb.15:
	v_add_nc_u32_e32 v0, 0x800, v98
	v_add_nc_u32_e32 v1, 0x1400, v98
	ds_load_2addr_b64 v[8:11], v98 offset0:78 offset1:221
	ds_load_2addr_b64 v[12:15], v0 offset0:108 offset1:251
	;; [unrolled: 1-line block ×3, first 2 shown]
.LBB0_16:
	s_wait_alu 0xfffe
	s_or_b32 exec_lo, exec_lo, s1
	v_add_f64_e32 v[70:71], v[64:65], v[54:55]
	v_add_f64_e32 v[54:55], v[54:55], v[32:33]
	v_add_f64_e64 v[36:37], v[36:37], -v[48:49]
	s_mov_b32 s39, 0x3fe82f19
	s_mov_b32 s38, s14
	v_add_f64_e64 v[30:31], v[30:31], -v[44:45]
	v_add_f64_e64 v[28:29], v[28:29], -v[66:67]
	;; [unrolled: 1-line block ×3, first 2 shown]
	v_add_f64_e32 v[58:59], v[60:61], v[62:63]
	v_add_f64_e64 v[34:35], v[34:35], -v[52:53]
	global_wb scope:SCOPE_SE
	s_wait_dscnt 0x0
	s_barrier_signal -1
	s_barrier_wait -1
	global_inv scope:SCOPE_SE
	v_add_f64_e32 v[70:71], v[70:71], v[46:47]
	v_add_f64_e32 v[46:47], v[46:47], v[4:5]
	v_mul_f64_e32 v[48:49], s[24:25], v[54:55]
	v_mul_f64_e32 v[72:73], s[22:23], v[54:55]
	;; [unrolled: 1-line block ×6, first 2 shown]
	v_add_f64_e32 v[70:71], v[70:71], v[42:43]
	v_add_f64_e32 v[42:43], v[42:43], v[24:25]
	v_mul_f64_e32 v[44:45], s[22:23], v[46:47]
	v_mul_f64_e32 v[83:84], s[26:27], v[46:47]
	;; [unrolled: 1-line block ×5, first 2 shown]
	v_fma_f64 v[89:90], v[36:37], s[30:31], v[48:49]
	v_fma_f64 v[91:92], v[36:37], s[34:35], v[72:73]
	;; [unrolled: 1-line block ×4, first 2 shown]
	s_wait_alu 0xfffe
	v_fma_f64 v[95:96], v[36:37], s[38:39], v[76:77]
	v_fma_f64 v[76:77], v[36:37], s[14:15], v[76:77]
	;; [unrolled: 1-line block ×6, first 2 shown]
	v_add_f64_e32 v[70:71], v[70:71], v[56:57]
	v_add_f64_e32 v[56:57], v[56:57], v[38:39]
	v_mul_f64_e32 v[66:67], s[20:21], v[42:43]
	v_mul_f64_e32 v[102:103], s[22:23], v[42:43]
	;; [unrolled: 1-line block ×3, first 2 shown]
	v_fma_f64 v[106:107], v[30:31], s[34:35], v[44:45]
	v_fma_f64 v[44:45], v[30:31], s[12:13], v[44:45]
	;; [unrolled: 1-line block ×10, first 2 shown]
	v_add_f64_e32 v[46:47], v[64:65], v[89:90]
	v_add_f64_e32 v[89:90], v[64:65], v[91:92]
	;; [unrolled: 1-line block ×11, first 2 shown]
	v_mul_f64_e32 v[70:71], s[36:37], v[42:43]
	v_mul_f64_e32 v[42:43], s[26:27], v[42:43]
	;; [unrolled: 1-line block ×5, first 2 shown]
	v_fma_f64 v[116:117], v[28:29], s[28:29], v[66:67]
	v_fma_f64 v[66:67], v[28:29], s[8:9], v[66:67]
	;; [unrolled: 1-line block ×6, first 2 shown]
	v_add_f64_e32 v[72:73], v[83:84], v[72:73]
	v_add_f64_e32 v[83:84], v[110:111], v[91:92]
	;; [unrolled: 1-line block ×7, first 2 shown]
	v_mul_f64_e32 v[44:45], s[36:37], v[58:59]
	v_mul_f64_e32 v[74:75], s[22:23], v[58:59]
	v_add_f64_e32 v[48:49], v[48:49], v[62:63]
	v_mul_f64_e32 v[62:63], s[20:21], v[56:57]
	v_mul_f64_e32 v[56:57], s[22:23], v[56:57]
	v_fma_f64 v[118:119], v[28:29], s[16:17], v[70:71]
	v_fma_f64 v[70:71], v[28:29], s[18:19], v[70:71]
	;; [unrolled: 1-line block ×4, first 2 shown]
	v_add_f64_e32 v[42:43], v[106:107], v[46:47]
	v_add_f64_e32 v[46:47], v[108:109], v[89:90]
	v_add_f64_e32 v[89:90], v[112:113], v[93:94]
	v_fma_f64 v[85:86], v[26:27], s[38:39], v[60:61]
	v_fma_f64 v[60:61], v[26:27], s[14:15], v[60:61]
	;; [unrolled: 1-line block ×6, first 2 shown]
	v_add_f64_e32 v[76:77], v[104:105], v[76:77]
	v_add_f64_e32 v[36:37], v[66:67], v[36:37]
	v_fma_f64 v[66:67], v[34:35], s[38:39], v[52:53]
	v_fma_f64 v[52:53], v[34:35], s[14:15], v[52:53]
	v_add_f64_e32 v[38:39], v[48:49], v[38:39]
	v_mul_f64_e32 v[48:49], s[24:25], v[58:59]
	v_mul_f64_e32 v[58:59], s[20:21], v[58:59]
	v_fma_f64 v[91:92], v[26:27], s[8:9], v[62:63]
	v_fma_f64 v[62:63], v[26:27], s[28:29], v[62:63]
	;; [unrolled: 1-line block ×4, first 2 shown]
	v_add_f64_e32 v[42:43], v[116:117], v[42:43]
	v_add_f64_e32 v[46:47], v[118:119], v[46:47]
	;; [unrolled: 1-line block ×8, first 2 shown]
	v_fma_f64 v[87:88], v[34:35], s[12:13], v[74:75]
	v_fma_f64 v[74:75], v[34:35], s[34:35], v[74:75]
	v_add_f64_e32 v[36:37], v[60:61], v[36:37]
	v_add_f64_e32 v[24:25], v[38:39], v[24:25]
	v_fma_f64 v[38:39], v[34:35], s[18:19], v[44:45]
	v_fma_f64 v[44:45], v[34:35], s[16:17], v[44:45]
	;; [unrolled: 1-line block ×6, first 2 shown]
	v_add_f64_e32 v[42:43], v[85:86], v[42:43]
	v_add_f64_e32 v[46:47], v[91:92], v[46:47]
	;; [unrolled: 1-line block ×20, first 2 shown]
	v_add_nc_u32_e32 v34, 0x400, v98
	v_add_f64_e32 v[32:33], v[60:61], v[32:33]
	ds_store_2addr_b64 v69, v[42:43], v[46:47] offset0:26 offset1:39
	ds_store_2addr_b64 v69, v[48:49], v[54:55] offset0:52 offset1:65
	;; [unrolled: 1-line block ×4, first 2 shown]
	ds_store_b64 v69, v[4:5] offset:1040
	ds_store_2addr_b64 v69, v[32:33], v[38:39] offset1:13
	global_wb scope:SCOPE_SE
	s_wait_dscnt 0x0
	s_barrier_signal -1
	s_barrier_wait -1
	global_inv scope:SCOPE_SE
	ds_load_2addr_b64 v[32:35], v34 offset0:15 offset1:158
	ds_load_2addr_b64 v[36:39], v68 offset0:45 offset1:188
	ds_load_b64 v[42:43], v99
	ds_load_b64 v[44:45], v98 offset:5720
	s_and_saveexec_b32 s1, s0
	s_cbranch_execz .LBB0_18
; %bb.17:
	v_add_nc_u32_e32 v4, 0x800, v98
	v_add_nc_u32_e32 v5, 0x1400, v98
	ds_load_2addr_b64 v[24:27], v98 offset0:78 offset1:221
	ds_load_2addr_b64 v[28:31], v4 offset0:108 offset1:251
	;; [unrolled: 1-line block ×3, first 2 shown]
.LBB0_18:
	s_wait_alu 0xfffe
	s_or_b32 exec_lo, exec_lo, s1
	s_and_saveexec_b32 s1, vcc_lo
	s_cbranch_execz .LBB0_21
; %bb.19:
	v_mul_u32_u24_e32 v46, 5, v82
	s_mov_b32 s8, 0xe8584caa
	s_mov_b32 s9, 0xbfebb67a
	;; [unrolled: 1-line block ×3, first 2 shown]
	s_wait_alu 0xfffe
	s_mov_b32 s6, s8
	v_dual_mov_b32 v83, 0 :: v_dual_lshlrev_b32 v64, 4, v46
	s_clause 0x4
	global_load_b128 v[46:49], v64, s[4:5] offset:2112
	global_load_b128 v[52:55], v64, s[4:5] offset:2144
	;; [unrolled: 1-line block ×5, first 2 shown]
	s_wait_loadcnt 0x4
	v_mul_f64_e32 v[68:69], v[20:21], v[48:49]
	s_wait_loadcnt 0x3
	v_mul_f64_e32 v[70:71], v[50:51], v[54:55]
	s_wait_dscnt 0x2
	v_mul_f64_e32 v[48:49], v[36:37], v[48:49]
	s_wait_dscnt 0x0
	v_mul_f64_e32 v[54:55], v[44:45], v[54:55]
	s_wait_loadcnt 0x2
	v_mul_f64_e32 v[72:73], v[16:17], v[58:59]
	v_mul_f64_e32 v[16:17], v[16:17], v[56:57]
	v_fma_f64 v[36:37], v[36:37], v[46:47], -v[68:69]
	v_fma_f64 v[44:45], v[44:45], v[52:53], -v[70:71]
	s_wait_loadcnt 0x1
	v_mul_f64_e32 v[68:69], v[18:19], v[62:63]
	s_wait_loadcnt 0x0
	v_mul_f64_e32 v[70:71], v[22:23], v[66:67]
	v_mul_f64_e32 v[62:63], v[34:35], v[62:63]
	;; [unrolled: 1-line block ×3, first 2 shown]
	v_fma_f64 v[20:21], v[20:21], v[46:47], v[48:49]
	v_fma_f64 v[46:47], v[50:51], v[52:53], v[54:55]
	v_fma_f64 v[48:49], v[32:33], v[56:57], -v[72:73]
	v_fma_f64 v[16:17], v[32:33], v[58:59], v[16:17]
	v_add_f64_e32 v[50:51], v[36:37], v[44:45]
	v_fma_f64 v[34:35], v[34:35], v[60:61], -v[68:69]
	v_fma_f64 v[38:39], v[38:39], v[64:65], -v[70:71]
	v_fma_f64 v[18:19], v[18:19], v[60:61], v[62:63]
	v_fma_f64 v[22:23], v[22:23], v[64:65], v[66:67]
	v_add_f64_e64 v[56:57], v[36:37], -v[44:45]
	v_add_f64_e32 v[32:33], v[20:21], v[46:47]
	v_add_f64_e64 v[52:53], v[20:21], -v[46:47]
	v_add_f64_e32 v[36:37], v[36:37], v[48:49]
	v_mul_lo_u32 v64, s3, v80
	v_mul_lo_u32 v65, s2, v81
	v_fma_f64 v[50:51], v[50:51], -0.5, v[48:49]
	v_add_f64_e32 v[62:63], v[42:43], v[34:35]
	v_add_f64_e32 v[54:55], v[34:35], v[38:39]
	v_add_f64_e64 v[34:35], v[34:35], -v[38:39]
	v_add_f64_e32 v[58:59], v[18:19], v[22:23]
	v_fma_f64 v[32:33], v[32:33], -0.5, v[16:17]
	v_add_f64_e32 v[16:17], v[20:21], v[16:17]
	v_add_f64_e32 v[36:37], v[44:45], v[36:37]
	v_fma_f64 v[60:61], v[52:53], s[8:9], v[50:51]
	s_wait_alu 0xfffe
	v_fma_f64 v[50:51], v[52:53], s[6:7], v[50:51]
	v_add_f64_e64 v[52:53], v[18:19], -v[22:23]
	v_add_f64_e32 v[18:19], v[40:41], v[18:19]
	v_fma_f64 v[20:21], v[54:55], -0.5, v[42:43]
	v_fma_f64 v[40:41], v[58:59], -0.5, v[40:41]
	v_fma_f64 v[42:43], v[56:57], s[6:7], v[32:33]
	v_fma_f64 v[32:33], v[56:57], s[8:9], v[32:33]
	v_add_f64_e32 v[38:39], v[62:63], v[38:39]
	v_add_f64_e32 v[16:17], v[46:47], v[16:17]
	v_mad_co_u64_u32 v[62:63], null, s2, v80, 0
	s_delay_alu instid0(VALU_DEP_1)
	v_add3_u32 v63, v63, v65, v64
	v_mul_f64_e32 v[48:49], -0.5, v[60:61]
	v_mul_f64_e32 v[54:55], 0.5, v[50:51]
	v_mul_f64_e32 v[50:51], s[8:9], v[50:51]
	v_mul_f64_e32 v[56:57], s[8:9], v[60:61]
	v_add_f64_e32 v[22:23], v[18:19], v[22:23]
	v_fma_f64 v[44:45], v[52:53], s[8:9], v[20:21]
	v_fma_f64 v[52:53], v[52:53], s[6:7], v[20:21]
	;; [unrolled: 1-line block ×3, first 2 shown]
	v_add_f64_e64 v[20:21], v[38:39], -v[36:37]
	v_fma_f64 v[46:47], v[42:43], s[6:7], v[48:49]
	v_fma_f64 v[48:49], v[34:35], s[8:9], v[40:41]
	;; [unrolled: 1-line block ×3, first 2 shown]
	v_fma_f64 v[60:61], v[32:33], 0.5, v[50:51]
	v_fma_f64 v[56:57], v[42:43], -0.5, v[56:57]
	v_add_f64_e32 v[34:35], v[38:39], v[36:37]
	v_add_f64_e32 v[32:33], v[22:23], v[16:17]
	v_add_f64_e64 v[18:19], v[22:23], -v[16:17]
	v_lshlrev_b64_e32 v[16:17], 4, v[62:63]
	v_lshlrev_b64_e32 v[22:23], 4, v[78:79]
	v_add_f64_e64 v[38:39], v[44:45], -v[46:47]
	v_add_f64_e32 v[42:43], v[44:45], v[46:47]
	v_add_f64_e32 v[46:47], v[52:53], v[54:55]
	v_add_f64_e32 v[44:45], v[48:49], v[60:61]
	v_add_f64_e32 v[40:41], v[58:59], v[56:57]
	v_add_f64_e64 v[50:51], v[52:53], -v[54:55]
	v_add_f64_e64 v[48:49], v[48:49], -v[60:61]
	;; [unrolled: 1-line block ×3, first 2 shown]
	v_add_co_u32 v52, vcc_lo, s10, v16
	s_wait_alu 0xfffd
	v_add_co_ci_u32_e32 v53, vcc_lo, s11, v17, vcc_lo
	v_lshlrev_b64_e32 v[16:17], 4, v[82:83]
	s_delay_alu instid0(VALU_DEP_3) | instskip(SKIP_1) | instid1(VALU_DEP_3)
	v_add_co_u32 v22, vcc_lo, v52, v22
	s_wait_alu 0xfffd
	v_add_co_ci_u32_e32 v23, vcc_lo, v53, v23, vcc_lo
	s_delay_alu instid0(VALU_DEP_2) | instskip(SKIP_1) | instid1(VALU_DEP_2)
	v_add_co_u32 v16, vcc_lo, v22, v16
	s_wait_alu 0xfffd
	v_add_co_ci_u32_e32 v17, vcc_lo, v23, v17, vcc_lo
	s_clause 0x5
	global_store_b128 v[16:17], v[32:35], off
	global_store_b128 v[16:17], v[44:47], off offset:2288
	global_store_b128 v[16:17], v[40:43], off offset:4576
	;; [unrolled: 1-line block ×5, first 2 shown]
	s_and_b32 exec_lo, exec_lo, s0
	s_cbranch_execz .LBB0_21
; %bb.20:
	v_mov_b32_e32 v18, 0x4e
	s_delay_alu instid0(VALU_DEP_1) | instskip(NEXT) | instid1(VALU_DEP_1)
	v_cndmask_b32_e64 v18, 0xffffffbf, v18, s0
	v_add_nc_u32_e32 v18, v82, v18
	s_delay_alu instid0(VALU_DEP_1) | instskip(NEXT) | instid1(VALU_DEP_1)
	v_mul_i32_i24_e32 v82, 5, v18
	v_lshlrev_b64_e32 v[18:19], 4, v[82:83]
	s_delay_alu instid0(VALU_DEP_1) | instskip(SKIP_1) | instid1(VALU_DEP_2)
	v_add_co_u32 v22, vcc_lo, s4, v18
	s_wait_alu 0xfffd
	v_add_co_ci_u32_e32 v23, vcc_lo, s5, v19, vcc_lo
	s_clause 0x4
	global_load_b128 v[18:21], v[22:23], off offset:2112
	global_load_b128 v[32:35], v[22:23], off offset:2144
	;; [unrolled: 1-line block ×5, first 2 shown]
	s_wait_loadcnt 0x4
	v_mul_f64_e32 v[22:23], v[14:15], v[20:21]
	s_wait_loadcnt 0x3
	v_mul_f64_e32 v[48:49], v[2:3], v[34:35]
	;; [unrolled: 2-line block ×3, first 2 shown]
	v_mul_f64_e32 v[20:21], v[30:31], v[20:21]
	v_mul_f64_e32 v[34:35], v[6:7], v[34:35]
	v_fma_f64 v[22:23], v[30:31], v[18:19], -v[22:23]
	v_fma_f64 v[6:7], v[6:7], v[32:33], -v[48:49]
	v_mul_f64_e32 v[30:31], v[26:27], v[38:39]
	s_wait_loadcnt 0x1
	v_mul_f64_e32 v[38:39], v[28:29], v[42:43]
	v_mul_f64_e32 v[42:43], v[12:13], v[42:43]
	s_wait_loadcnt 0x0
	v_mul_f64_e32 v[48:49], v[4:5], v[46:47]
	v_mul_f64_e32 v[46:47], v[0:1], v[46:47]
	v_fma_f64 v[14:15], v[14:15], v[18:19], v[20:21]
	v_fma_f64 v[2:3], v[2:3], v[32:33], v[34:35]
	v_fma_f64 v[18:19], v[26:27], v[36:37], -v[50:51]
	v_add_f64_e32 v[20:21], v[22:23], v[6:7]
	v_fma_f64 v[10:11], v[10:11], v[36:37], v[30:31]
	v_fma_f64 v[12:13], v[12:13], v[40:41], v[38:39]
	v_fma_f64 v[26:27], v[28:29], v[40:41], -v[42:43]
	v_fma_f64 v[0:1], v[0:1], v[44:45], v[48:49]
	v_fma_f64 v[4:5], v[4:5], v[44:45], -v[46:47]
	v_add_f64_e64 v[36:37], v[22:23], -v[6:7]
	v_add_f64_e32 v[28:29], v[14:15], v[2:3]
	v_add_f64_e64 v[30:31], v[14:15], -v[2:3]
	v_fma_f64 v[20:21], v[20:21], -0.5, v[18:19]
	v_add_f64_e32 v[32:33], v[12:13], v[0:1]
	v_add_f64_e32 v[34:35], v[26:27], v[4:5]
	v_add_f64_e64 v[40:41], v[26:27], -v[4:5]
	v_fma_f64 v[28:29], v[28:29], -0.5, v[10:11]
	v_add_f64_e32 v[26:27], v[24:25], v[26:27]
	v_add_f64_e32 v[10:11], v[10:11], v[14:15]
	;; [unrolled: 1-line block ×3, first 2 shown]
	v_fma_f64 v[38:39], v[30:31], s[6:7], v[20:21]
	v_fma_f64 v[20:21], v[30:31], s[8:9], v[20:21]
	v_add_f64_e32 v[30:31], v[8:9], v[12:13]
	v_add_f64_e64 v[12:13], v[12:13], -v[0:1]
	v_fma_f64 v[8:9], v[32:33], -0.5, v[8:9]
	v_fma_f64 v[18:19], v[34:35], -0.5, v[24:25]
	v_fma_f64 v[22:23], v[36:37], s[8:9], v[28:29]
	v_fma_f64 v[24:25], v[36:37], s[6:7], v[28:29]
	v_add_f64_e32 v[26:27], v[26:27], v[4:5]
	v_add_f64_e32 v[4:5], v[10:11], v[2:3]
	;; [unrolled: 1-line block ×3, first 2 shown]
	v_mul_f64_e32 v[28:29], s[8:9], v[38:39]
	v_mul_f64_e32 v[32:33], s[8:9], v[20:21]
	v_mul_f64_e32 v[34:35], 0.5, v[38:39]
	v_mul_f64_e32 v[20:21], -0.5, v[20:21]
	v_add_f64_e32 v[30:31], v[30:31], v[0:1]
	v_fma_f64 v[36:37], v[40:41], s[8:9], v[8:9]
	v_fma_f64 v[38:39], v[40:41], s[6:7], v[8:9]
	;; [unrolled: 1-line block ×4, first 2 shown]
	v_add_f64_e32 v[2:3], v[26:27], v[6:7]
	v_add_f64_e64 v[6:7], v[26:27], -v[6:7]
	v_fma_f64 v[18:19], v[22:23], 0.5, v[28:29]
	v_fma_f64 v[28:29], v[24:25], -0.5, v[32:33]
	v_fma_f64 v[32:33], v[22:23], s[6:7], v[34:35]
	v_fma_f64 v[24:25], v[24:25], s[6:7], v[20:21]
	v_add_f64_e32 v[0:1], v[30:31], v[4:5]
	v_add_f64_e64 v[4:5], v[30:31], -v[4:5]
	v_add_f64_e32 v[8:9], v[36:37], v[18:19]
	v_add_f64_e32 v[12:13], v[38:39], v[28:29]
	;; [unrolled: 1-line block ×4, first 2 shown]
	v_add_f64_e64 v[18:19], v[36:37], -v[18:19]
	v_add_f64_e64 v[20:21], v[40:41], -v[32:33]
	;; [unrolled: 1-line block ×4, first 2 shown]
	s_clause 0x5
	global_store_b128 v[16:17], v[0:3], off offset:1248
	global_store_b128 v[16:17], v[8:11], off offset:3536
	global_store_b128 v[16:17], v[12:15], off offset:5824
	global_store_b128 v[16:17], v[4:7], off offset:8112
	global_store_b128 v[16:17], v[18:21], off offset:10400
	global_store_b128 v[16:17], v[22:25], off offset:12688
.LBB0_21:
	s_nop 0
	s_sendmsg sendmsg(MSG_DEALLOC_VGPRS)
	s_endpgm
	.section	.rodata,"a",@progbits
	.p2align	6, 0x0
	.amdhsa_kernel fft_rtc_back_len858_factors_13_11_6_wgs_234_tpt_78_halfLds_dp_op_CI_CI_unitstride_sbrr_dirReg
		.amdhsa_group_segment_fixed_size 0
		.amdhsa_private_segment_fixed_size 0
		.amdhsa_kernarg_size 104
		.amdhsa_user_sgpr_count 2
		.amdhsa_user_sgpr_dispatch_ptr 0
		.amdhsa_user_sgpr_queue_ptr 0
		.amdhsa_user_sgpr_kernarg_segment_ptr 1
		.amdhsa_user_sgpr_dispatch_id 0
		.amdhsa_user_sgpr_private_segment_size 0
		.amdhsa_wavefront_size32 1
		.amdhsa_uses_dynamic_stack 0
		.amdhsa_enable_private_segment 0
		.amdhsa_system_sgpr_workgroup_id_x 1
		.amdhsa_system_sgpr_workgroup_id_y 0
		.amdhsa_system_sgpr_workgroup_id_z 0
		.amdhsa_system_sgpr_workgroup_info 0
		.amdhsa_system_vgpr_workitem_id 0
		.amdhsa_next_free_vgpr 156
		.amdhsa_next_free_sgpr 48
		.amdhsa_reserve_vcc 1
		.amdhsa_float_round_mode_32 0
		.amdhsa_float_round_mode_16_64 0
		.amdhsa_float_denorm_mode_32 3
		.amdhsa_float_denorm_mode_16_64 3
		.amdhsa_fp16_overflow 0
		.amdhsa_workgroup_processor_mode 1
		.amdhsa_memory_ordered 1
		.amdhsa_forward_progress 0
		.amdhsa_round_robin_scheduling 0
		.amdhsa_exception_fp_ieee_invalid_op 0
		.amdhsa_exception_fp_denorm_src 0
		.amdhsa_exception_fp_ieee_div_zero 0
		.amdhsa_exception_fp_ieee_overflow 0
		.amdhsa_exception_fp_ieee_underflow 0
		.amdhsa_exception_fp_ieee_inexact 0
		.amdhsa_exception_int_div_zero 0
	.end_amdhsa_kernel
	.text
.Lfunc_end0:
	.size	fft_rtc_back_len858_factors_13_11_6_wgs_234_tpt_78_halfLds_dp_op_CI_CI_unitstride_sbrr_dirReg, .Lfunc_end0-fft_rtc_back_len858_factors_13_11_6_wgs_234_tpt_78_halfLds_dp_op_CI_CI_unitstride_sbrr_dirReg
                                        ; -- End function
	.section	.AMDGPU.csdata,"",@progbits
; Kernel info:
; codeLenInByte = 9180
; NumSgprs: 50
; NumVgprs: 156
; ScratchSize: 0
; MemoryBound: 1
; FloatMode: 240
; IeeeMode: 1
; LDSByteSize: 0 bytes/workgroup (compile time only)
; SGPRBlocks: 6
; VGPRBlocks: 19
; NumSGPRsForWavesPerEU: 50
; NumVGPRsForWavesPerEU: 156
; Occupancy: 9
; WaveLimiterHint : 1
; COMPUTE_PGM_RSRC2:SCRATCH_EN: 0
; COMPUTE_PGM_RSRC2:USER_SGPR: 2
; COMPUTE_PGM_RSRC2:TRAP_HANDLER: 0
; COMPUTE_PGM_RSRC2:TGID_X_EN: 1
; COMPUTE_PGM_RSRC2:TGID_Y_EN: 0
; COMPUTE_PGM_RSRC2:TGID_Z_EN: 0
; COMPUTE_PGM_RSRC2:TIDIG_COMP_CNT: 0
	.text
	.p2alignl 7, 3214868480
	.fill 96, 4, 3214868480
	.type	__hip_cuid_220367a466e89e1c,@object ; @__hip_cuid_220367a466e89e1c
	.section	.bss,"aw",@nobits
	.globl	__hip_cuid_220367a466e89e1c
__hip_cuid_220367a466e89e1c:
	.byte	0                               ; 0x0
	.size	__hip_cuid_220367a466e89e1c, 1

	.ident	"AMD clang version 19.0.0git (https://github.com/RadeonOpenCompute/llvm-project roc-6.4.0 25133 c7fe45cf4b819c5991fe208aaa96edf142730f1d)"
	.section	".note.GNU-stack","",@progbits
	.addrsig
	.addrsig_sym __hip_cuid_220367a466e89e1c
	.amdgpu_metadata
---
amdhsa.kernels:
  - .args:
      - .actual_access:  read_only
        .address_space:  global
        .offset:         0
        .size:           8
        .value_kind:     global_buffer
      - .offset:         8
        .size:           8
        .value_kind:     by_value
      - .actual_access:  read_only
        .address_space:  global
        .offset:         16
        .size:           8
        .value_kind:     global_buffer
      - .actual_access:  read_only
        .address_space:  global
        .offset:         24
        .size:           8
        .value_kind:     global_buffer
      - .actual_access:  read_only
        .address_space:  global
        .offset:         32
        .size:           8
        .value_kind:     global_buffer
      - .offset:         40
        .size:           8
        .value_kind:     by_value
      - .actual_access:  read_only
        .address_space:  global
        .offset:         48
        .size:           8
        .value_kind:     global_buffer
      - .actual_access:  read_only
        .address_space:  global
        .offset:         56
        .size:           8
        .value_kind:     global_buffer
      - .offset:         64
        .size:           4
        .value_kind:     by_value
      - .actual_access:  read_only
        .address_space:  global
        .offset:         72
        .size:           8
        .value_kind:     global_buffer
      - .actual_access:  read_only
        .address_space:  global
        .offset:         80
        .size:           8
        .value_kind:     global_buffer
      - .actual_access:  read_only
        .address_space:  global
        .offset:         88
        .size:           8
        .value_kind:     global_buffer
      - .actual_access:  write_only
        .address_space:  global
        .offset:         96
        .size:           8
        .value_kind:     global_buffer
    .group_segment_fixed_size: 0
    .kernarg_segment_align: 8
    .kernarg_segment_size: 104
    .language:       OpenCL C
    .language_version:
      - 2
      - 0
    .max_flat_workgroup_size: 234
    .name:           fft_rtc_back_len858_factors_13_11_6_wgs_234_tpt_78_halfLds_dp_op_CI_CI_unitstride_sbrr_dirReg
    .private_segment_fixed_size: 0
    .sgpr_count:     50
    .sgpr_spill_count: 0
    .symbol:         fft_rtc_back_len858_factors_13_11_6_wgs_234_tpt_78_halfLds_dp_op_CI_CI_unitstride_sbrr_dirReg.kd
    .uniform_work_group_size: 1
    .uses_dynamic_stack: false
    .vgpr_count:     156
    .vgpr_spill_count: 0
    .wavefront_size: 32
    .workgroup_processor_mode: 1
amdhsa.target:   amdgcn-amd-amdhsa--gfx1201
amdhsa.version:
  - 1
  - 2
...

	.end_amdgpu_metadata
